;; amdgpu-corpus repo=zjin-lcf/HeCBench kind=compiled arch=gfx1250 opt=O3
	.amdgcn_target "amdgcn-amd-amdhsa--gfx1250"
	.amdhsa_code_object_version 6
	.text
	.protected	_Z9hotspot3dPKfS0_Pfiiiffffffff ; -- Begin function _Z9hotspot3dPKfS0_Pfiiiffffffff
	.globl	_Z9hotspot3dPKfS0_Pfiiiffffffff
	.p2align	8
	.type	_Z9hotspot3dPKfS0_Pfiiiffffffff,@function
_Z9hotspot3dPKfS0_Pfiiiffffffff:        ; @_Z9hotspot3dPKfS0_Pfiiiffffffff
; %bb.0:
	s_clause 0x1
	s_load_b32 s2, s[0:1], 0x54
	s_load_b96 s[16:18], s[0:1], 0x38
	s_bfe_u32 s12, ttmp6, 0x4000c
	s_bfe_u32 s13, ttmp6, 0x40010
	s_load_b256 s[4:11], s[0:1], 0x18
	s_add_co_i32 s12, s12, 1
	s_add_co_i32 s13, s13, 1
	s_and_b32 s3, ttmp6, 15
	s_bfe_u32 s14, ttmp6, 0x40004
	s_mul_i32 s12, ttmp9, s12
	s_mul_i32 s13, ttmp7, s13
	s_getreg_b32 s15, hwreg(HW_REG_IB_STS2, 6, 4)
	v_bfe_u32 v1, v0, 10, 10
	s_add_co_i32 s3, s3, s12
	s_add_co_i32 s14, s14, s13
	v_and_b32_e32 v0, 0x3ff, v0
	s_mov_b32 s25, -1
	s_load_b64 s[20:21], s[0:1], 0x10
	s_wait_kmcnt 0x0
	s_lshr_b32 s12, s2, 16
	s_and_b32 s2, s2, 0xffff
	s_cmp_eq_u32 s15, 0
	s_cselect_b32 s13, ttmp7, s14
	s_cselect_b32 s3, ttmp9, s3
	v_mad_u32 v8, s13, s12, v1
	v_mad_u32 v9, s3, s2, v0
	s_load_b128 s[12:15], s[0:1], 0x0
	s_add_co_i32 s2, s4, -1
	s_mul_i32 s22, s5, s4
	s_wait_xcnt 0x0
	s_mov_b32 s0, s17
	s_ashr_i32 s23, s22, 31
	s_mov_b32 s1, s7
	s_mov_b32 s3, s9
	v_mov_b32_e32 v1, 0
	v_mul_lo_u32 v5, v8, s4
	v_cmp_ne_u32_e32 vcc_lo, s2, v9
	s_add_co_i32 s2, s5, -1
	s_mov_b32 s5, 0
	v_cmp_ne_u32_e64 s2, s2, v8
	s_cmp_lt_i32 s6, 3
	v_cndmask_b32_e64 v0, 0, 1, vcc_lo
	v_cndmask_b32_e64 v10, 0, s4, s2
	v_cmp_eq_u32_e64 s2, 0, v9
	s_delay_alu instid0(VALU_DEP_3) | instskip(NEXT) | instid1(VALU_DEP_1)
	v_dual_add_nc_u32 v6, v5, v9 :: v_dual_lshlrev_b32 v0, 2, v0
	v_ashrrev_i32_e32 v7, 31, v6
	v_subrev_nc_u32_e32 v12, s4, v6
	s_wait_kmcnt 0x0
	global_load_b32 v4, v6, s[12:13] scale_offset
	v_lshl_add_u64 v[2:3], v[6:7], 2, s[12:13]
	v_add_nc_u32_e32 v7, -1, v6
	v_ashrrev_i32_e32 v11, 31, v10
	s_delay_alu instid0(VALU_DEP_3) | instskip(NEXT) | instid1(VALU_DEP_3)
	v_add_nc_u64_e32 v[0:1], v[2:3], v[0:1]
	v_cndmask_b32_e64 v7, v7, v5, s2
	v_cmp_eq_u32_e64 s2, 0, v8
	s_delay_alu instid0(VALU_DEP_1)
	v_cndmask_b32_e64 v16, v12, v9, s2
	global_load_b32 v5, v[0:1], off
	s_wait_xcnt 0x0
	v_lshl_add_u64 v[0:1], v[10:11], 2, v[2:3]
	global_load_b32 v11, v7, s[12:13] scale_offset
	v_lshl_add_u64 v[8:9], s[22:23], 2, v[2:3]
	global_load_b32 v13, v6, s[14:15] scale_offset
	s_clause 0x2
	global_load_b32 v15, v16, s[12:13] scale_offset
	global_load_b32 v14, v[0:1], off
	global_load_b32 v2, v[8:9], off
	s_wait_xcnt 0x1
	v_mov_b64_e32 v[0:1], s[0:1]
	s_mov_b32 s2, s10
	v_mov_b32_e32 v12, 0x42a00000
	s_wait_xcnt 0x0
	v_mov_b64_e32 v[8:9], s[2:3]
	s_wait_loadcnt 0x5
	s_delay_alu instid0(VALU_DEP_3) | instskip(SKIP_1) | instid1(VALU_DEP_2)
	v_pk_mul_f32 v[0:1], v[0:1], v[4:5]
	s_wait_loadcnt 0x1
	v_pk_mul_f32 v[8:9], v[8:9], v[14:15]
	s_delay_alu instid0(VALU_DEP_2) | instskip(NEXT) | instid1(VALU_DEP_1)
	v_fma_f32 v0, s8, v11, v0
	v_dual_add_f32 v3, v0, v1 :: v_dual_mov_b32 v0, s16
	s_wait_loadcnt 0x0
	v_dual_mov_b32 v1, s11 :: v_dual_mov_b32 v5, v2
	s_delay_alu instid0(VALU_DEP_2) | instskip(NEXT) | instid1(VALU_DEP_2)
	v_dual_add_f32 v3, v3, v8 :: v_dual_add_nc_u32 v8, s22, v6
	v_pk_mul_f32 v[18:19], v[0:1], v[4:5]
	v_dual_mov_b32 v0, s11 :: v_dual_mov_b32 v1, s18
	s_delay_alu instid0(VALU_DEP_3) | instskip(SKIP_1) | instid1(VALU_DEP_3)
	v_dual_add_f32 v3, v3, v9 :: v_dual_ashrrev_i32 v9, 31, v8
	v_add_nc_u32_e32 v14, v8, v10
	v_pk_mul_f32 v[0:1], v[0:1], v[12:13]
	s_delay_alu instid0(VALU_DEP_3) | instskip(SKIP_1) | instid1(VALU_DEP_2)
	v_add_f32_e32 v3, v18, v3
	v_add_nc_u32_e32 v12, s22, v7
	v_add_f32_e32 v3, v19, v3
	s_delay_alu instid0(VALU_DEP_1) | instskip(SKIP_1) | instid1(VALU_DEP_2)
	v_dual_add_f32 v1, v1, v3 :: v_dual_add_nc_u32 v10, s22, v16
	v_add_co_ci_u32_e64 v16, null, s22, v6, vcc_lo
	v_add_f32_e32 v1, v0, v1
	global_store_b32 v6, v1, s[20:21] scale_offset
	s_cbranch_scc1 .LBB0_16
; %bb.1:
	v_readfirstlane_b32 s29, v0
	s_add_co_i32 s19, s6, -2
	s_mov_b32 s4, s17
	s_cmp_gt_u32 s19, 1
	s_cbranch_scc0 .LBB0_6
; %bb.2:
	s_wait_xcnt 0x0
	v_dual_mov_b32 v1, v0 :: v_dual_add_nc_u32 v13, s22, v12
	v_dual_add_nc_u32 v17, s22, v16 :: v_dual_add_nc_u32 v11, s22, v10
	v_dual_add_nc_u32 v15, s22, v14 :: v_dual_add_nc_u32 v3, s22, v8
	s_mov_b32 s28, s11
	s_mov_b32 s5, s17
	s_mov_b32 s30, s8
	s_mov_b32 s31, s8
	s_mov_b32 s34, s7
	s_mov_b32 s35, s7
	s_mov_b32 s36, s10
	s_mov_b32 s37, s10
	s_mov_b32 s38, s9
	s_mov_b32 s39, s9
	s_mov_b32 s17, s16
	s_mov_b32 s29, s11
	s_mov_b32 s40, s18
	s_mov_b32 s41, s18
	v_mov_b64_e32 v[20:21], s[30:31]
	v_mov_b64_e32 v[24:25], s[4:5]
	v_mov_b64_e32 v[26:27], s[34:35]
	v_mov_b64_e32 v[28:29], s[36:37]
	v_mov_b64_e32 v[32:33], s[38:39]
	v_mov_b64_e32 v[34:35], s[16:17]
	v_mov_b64_e32 v[30:31], s[28:29]
	v_mov_b64_e32 v[36:37], s[40:41]
	v_mov_b64_e32 v[38:39], v[12:13]
	v_mov_b64_e32 v[40:41], v[16:17]
	v_mov_b64_e32 v[42:43], v[10:11]
	v_mov_b64_e32 v[44:45], v[14:15]
	v_dual_mov_b32 v18, v8 :: v_dual_mov_b32 v7, v2
	v_mov_b32_e32 v46, v4
	s_and_b32 s25, s19, -2
	s_lshl_b32 s27, s22, 1
	s_mov_b32 s24, s7
	s_mov_b32 s26, s18
	;; [unrolled: 1-line block ×6, first 2 shown]
.LBB0_3:                                ; =>This Inner Loop Header: Depth=1
	s_delay_alu instid0(VALU_DEP_2)
	v_dual_add_nc_u32 v5, s7, v18 :: v_dual_add_nc_u32 v22, s5, v3
	s_add_co_i32 s28, s28, -2
	s_clause 0x8
	global_load_b32 v6, v5, s[12:13] scale_offset
	global_load_b32 v48, v38, s[12:13] scale_offset
	;; [unrolled: 1-line block ×9, first 2 shown]
	v_mov_b32_e32 v56, v7
	global_load_b32 v7, v22, s[12:13] scale_offset
	s_clause 0x1
	global_load_b32 v58, v18, s[14:15] scale_offset
	global_load_b32 v59, v3, s[14:15] scale_offset
	s_wait_xcnt 0x6
	v_dual_add_nc_u32 v44, s27, v44 :: v_dual_add_nc_u32 v39, s17, v39
	v_dual_add_nc_u32 v38, s27, v38 :: v_dual_add_nc_u32 v41, s17, v41
	s_wait_xcnt 0x3
	v_dual_add_nc_u32 v40, s27, v40 :: v_dual_add_nc_u32 v43, s17, v43
	v_add_nc_u32_e32 v42, s27, v42
	s_cmp_lg_u32 s28, 0
	s_wait_loadcnt 0xb
	v_dual_add_nc_u32 v45, s17, v45 :: v_dual_mov_b32 v57, v6
	v_mov_b32_e32 v47, v56
	s_wait_loadcnt 0x9
	v_pk_mul_f32 v[48:49], v[20:21], v[48:49]
	s_delay_alu instid0(VALU_DEP_1) | instskip(SKIP_1) | instid1(VALU_DEP_1)
	v_pk_fma_f32 v[48:49], v[24:25], v[56:57], v[48:49]
	s_wait_loadcnt 0x7
	v_pk_fma_f32 v[48:49], v[26:27], v[50:51], v[48:49]
	s_wait_loadcnt 0x5
	s_delay_alu instid0(VALU_DEP_1) | instskip(SKIP_1) | instid1(VALU_DEP_1)
	v_pk_fma_f32 v[48:49], v[28:29], v[52:53], v[48:49]
	s_wait_loadcnt 0x3
	v_pk_fma_f32 v[48:49], v[32:33], v[54:55], v[48:49]
	s_delay_alu instid0(VALU_DEP_1) | instskip(SKIP_1) | instid1(VALU_DEP_1)
	v_pk_fma_f32 v[46:47], v[34:35], v[46:47], v[48:49]
	s_wait_loadcnt 0x2
	v_pk_fma_f32 v[46:47], v[30:31], v[6:7], v[46:47]
	s_wait_loadcnt 0x0
	s_delay_alu instid0(VALU_DEP_1) | instskip(NEXT) | instid1(VALU_DEP_1)
	v_pk_fma_f32 v[46:47], v[36:37], v[58:59], v[46:47]
	v_pk_add_f32 v[46:47], v[0:1], v[46:47]
	s_clause 0x1
	global_store_b32 v18, v46, s[20:21] scale_offset
	global_store_b32 v3, v47, s[20:21] scale_offset
	s_wait_xcnt 0x0
	v_dual_add_nc_u32 v3, s17, v3 :: v_dual_add_nc_u32 v18, s27, v18
	v_mov_b32_e32 v46, v6
	s_cbranch_scc1 .LBB0_3
; %bb.4:
	v_ashrrev_i32_e32 v23, 31, v22
	v_pk_mul_f32 v[18:19], v[30:31], v[6:7]
	s_mul_i32 s7, s25, s22
	s_cmp_eq_u32 s19, s25
	s_mov_b32 s25, 0
	s_cbranch_scc1 .LBB0_7
; %bb.5:
	v_dual_mov_b32 v3, v7 :: v_dual_add_nc_u32 v20, s7, v8
	s_or_b32 s29, s19, 1
	s_mov_b32 s5, -1
	s_delay_alu instid0(VALU_DEP_1)
	v_ashrrev_i32_e32 v21, 31, v20
	s_branch .LBB0_8
.LBB0_6:
	s_mov_b32 s26, s18
	s_mov_b32 s24, s7
                                        ; implicit-def: $vgpr13
                                        ; implicit-def: $vgpr11
                                        ; implicit-def: $vgpr5
                                        ; implicit-def: $vgpr1
                                        ; implicit-def: $vgpr19
                                        ; implicit-def: $vgpr7
                                        ; implicit-def: $vgpr22_vgpr23
                                        ; implicit-def: $vgpr3
                                        ; implicit-def: $vgpr24
                                        ; implicit-def: $vgpr26
                                        ; implicit-def: $vgpr28
                                        ; implicit-def: $vgpr30
                                        ; implicit-def: $vgpr20_vgpr21
	s_and_b32 vcc_lo, exec_lo, s25
	s_cbranch_vccnz .LBB0_9
	s_branch .LBB0_10
.LBB0_7:
	v_mov_b32_e32 v3, v6
	s_mov_b32 s5, 0
                                        ; implicit-def: $sgpr29
                                        ; implicit-def: $vgpr20_vgpr21
.LBB0_8:
	v_dual_add_nc_u32 v1, s7, v14 :: v_dual_add_nc_u32 v11, s7, v16
	v_dual_add_nc_u32 v5, s7, v10 :: v_dual_add_nc_u32 v13, s7, v12
	s_delay_alu instid0(VALU_DEP_2) | instskip(NEXT) | instid1(VALU_DEP_2)
	v_dual_mov_b32 v24, v1 :: v_dual_mov_b32 v28, v11
	v_dual_mov_b32 v26, v5 :: v_dual_mov_b32 v30, v13
	s_and_b32 vcc_lo, exec_lo, s25
	s_cbranch_vccz .LBB0_10
.LBB0_9:
	v_mov_b64_e32 v[20:21], v[8:9]
	s_wait_xcnt 0x0
	v_dual_mov_b32 v6, v4 :: v_dual_mov_b32 v3, v2
	v_dual_mov_b32 v24, v14 :: v_dual_mov_b32 v26, v10
	;; [unrolled: 1-line block ×3, first 2 shown]
	s_mov_b32 s5, -1
	s_mov_b32 s29, 1
.LBB0_10:
	s_and_not1_b32 vcc_lo, exec_lo, s5
	s_cbranch_vccnz .LBB0_14
; %bb.11:
	v_lshlrev_b64_e32 v[18:19], 2, v[20:21]
	v_add_nc_u64_e32 v[14:15], s[22:23], v[20:21]
	v_dual_ashrrev_i32 v31, 31, v30 :: v_dual_ashrrev_i32 v29, 31, v28
	v_dual_ashrrev_i32 v27, 31, v26 :: v_dual_ashrrev_i32 v25, 31, v24
	s_mov_b32 s5, s8
	s_mov_b32 s25, s10
	;; [unrolled: 1-line block ×4, first 2 shown]
	v_add_nc_u64_e32 v[16:17], s[14:15], v[18:19]
	v_add_nc_u64_e32 v[22:23], s[20:21], v[18:19]
	v_mov_b64_e32 v[32:33], s[4:5]
	v_mov_b64_e32 v[34:35], s[24:25]
	;; [unrolled: 1-line block ×4, first 2 shown]
	v_lshl_add_u64 v[4:5], v[30:31], 2, s[12:13]
	v_lshl_add_u64 v[8:9], v[28:29], 2, s[12:13]
	;; [unrolled: 1-line block ×5, first 2 shown]
	s_not_b32 s7, s29
	s_lshl_b64 s[10:11], s[22:23], 2
	s_add_co_i32 s7, s7, s6
	s_mov_b32 s6, 0
	s_mov_b64 s[4:5], 0
.LBB0_12:                               ; =>This Inner Loop Header: Depth=1
	s_delay_alu instid0(SALU_CYCLE_1)
	v_add_nc_u64_e32 v[18:19], s[4:5], v[4:5]
	s_wait_xcnt 0x0
	v_add_nc_u64_e32 v[42:43], s[4:5], v[14:15]
	v_add_nc_u64_e32 v[44:45], s[4:5], v[8:9]
	;; [unrolled: 1-line block ×3, first 2 shown]
	v_mov_b32_e32 v40, v3
	v_add_nc_u64_e32 v[20:21], s[22:23], v[20:21]
	s_add_co_i32 s7, s7, -1
	s_clause 0x3
	global_load_b32 v41, v[18:19], off
	global_load_b32 v3, v[42:43], off
	;; [unrolled: 1-line block ×4, first 2 shown]
	s_wait_xcnt 0x3
	v_add_nc_u64_e32 v[18:19], s[4:5], v[10:11]
	s_add_co_i32 s6, s6, s22
	s_cmp_eq_u32 s7, 0
	global_load_b32 v7, v[18:19], off
	s_wait_xcnt 0x0
	v_add_nc_u64_e32 v[18:19], s[4:5], v[16:17]
	global_load_b32 v2, v[18:19], off
	s_wait_loadcnt 0x5
	s_wait_xcnt 0x0
	v_pk_mul_f32 v[18:19], v[32:33], v[40:41]
	s_wait_loadcnt 0x2
	v_pk_mul_f32 v[42:43], v[34:35], v[48:49]
	s_delay_alu instid0(VALU_DEP_2) | instskip(NEXT) | instid1(VALU_DEP_1)
	v_add_f32_e32 v1, v18, v19
	v_add_f32_e32 v1, v1, v42
	s_wait_loadcnt 0x1
	v_pk_mul_f32 v[6:7], v[36:37], v[6:7]
	s_delay_alu instid0(VALU_DEP_2)
	v_add_f32_e32 v1, v1, v43
	v_add_nc_u64_e32 v[42:43], s[4:5], v[22:23]
	s_add_nc_u64 s[4:5], s[4:5], s[10:11]
	s_wait_loadcnt 0x0
	v_pk_mul_f32 v[18:19], v[38:39], v[2:3]
	v_add_f32_e32 v1, v1, v7
	s_delay_alu instid0(VALU_DEP_1) | instskip(NEXT) | instid1(VALU_DEP_1)
	v_dual_add_f32 v1, v6, v1 :: v_dual_mov_b32 v6, v40
	v_add_f32_e32 v1, v19, v1
	s_delay_alu instid0(VALU_DEP_1) | instskip(NEXT) | instid1(VALU_DEP_1)
	v_add_f32_e32 v1, v18, v1
	v_add_f32_e32 v1, v0, v1
	global_store_b32 v[42:43], v1, off
	s_cbranch_scc0 .LBB0_12
; %bb.13:
	s_wait_xcnt 0x0
	v_dual_add_nc_u32 v1, s6, v24 :: v_dual_add_nc_u32 v5, s6, v26
	v_dual_add_nc_u32 v11, s6, v28 :: v_dual_add_nc_u32 v13, s6, v30
	v_mov_b32_e32 v7, v3
	s_branch .LBB0_15
.LBB0_14:
	v_mov_b64_e32 v[20:21], v[22:23]
	v_mov_b32_e32 v40, v3
.LBB0_15:
	s_delay_alu instid0(VALU_DEP_2) | instskip(NEXT) | instid1(VALU_DEP_2)
	v_mov_b64_e32 v[8:9], v[20:21]
	v_dual_mul_f32 v18, s16, v40 :: v_dual_mov_b32 v12, v13
	v_dual_mov_b32 v16, v11 :: v_dual_mov_b32 v10, v5
	v_dual_mov_b32 v14, v1 :: v_dual_mov_b32 v2, v7
.LBB0_16:
	s_clause 0x3
	global_load_b32 v3, v16, s[12:13] scale_offset
	global_load_b32 v1, v12, s[12:13] scale_offset
	;; [unrolled: 1-line block ×4, first 2 shown]
	v_lshlrev_b64_e32 v[6:7], 2, v[8:9]
	s_delay_alu instid0(VALU_DEP_1) | instskip(SKIP_4) | instid1(VALU_DEP_1)
	v_add_nc_u64_e32 v[8:9], s[14:15], v[6:7]
	global_load_b32 v10, v[8:9], off
	s_wait_xcnt 0x0
	v_mov_b64_e32 v[8:9], s[0:1]
	s_wait_loadcnt 0x4
	v_pk_mul_f32 v[2:3], v[8:9], v[2:3]
	v_mov_b64_e32 v[8:9], s[2:3]
	s_wait_loadcnt 0x3
	s_delay_alu instid0(VALU_DEP_2) | instskip(NEXT) | instid1(VALU_DEP_1)
	v_fma_f32 v1, s8, v1, v2
	v_add_f32_e32 v1, v1, v3
	s_wait_loadcnt 0x1
	s_delay_alu instid0(VALU_DEP_3) | instskip(NEXT) | instid1(VALU_DEP_1)
	v_pk_mul_f32 v[2:3], v[8:9], v[4:5]
	v_add_f32_e32 v1, v1, v2
	s_delay_alu instid0(VALU_DEP_1) | instskip(SKIP_1) | instid1(VALU_DEP_2)
	v_add_f32_e32 v1, v1, v3
	v_add_nc_u64_e32 v[2:3], s[20:21], v[6:7]
	v_add_f32_e32 v1, v18, v1
	s_delay_alu instid0(VALU_DEP_1) | instskip(SKIP_1) | instid1(VALU_DEP_1)
	v_add_f32_e32 v1, v19, v1
	s_wait_loadcnt 0x0
	v_fmac_f32_e32 v1, s18, v10
	s_delay_alu instid0(VALU_DEP_1)
	v_add_f32_e32 v0, v0, v1
	global_store_b32 v[2:3], v0, off
	s_endpgm
	.section	.rodata,"a",@progbits
	.p2align	6, 0x0
	.amdhsa_kernel _Z9hotspot3dPKfS0_Pfiiiffffffff
		.amdhsa_group_segment_fixed_size 0
		.amdhsa_private_segment_fixed_size 0
		.amdhsa_kernarg_size 328
		.amdhsa_user_sgpr_count 2
		.amdhsa_user_sgpr_dispatch_ptr 0
		.amdhsa_user_sgpr_queue_ptr 0
		.amdhsa_user_sgpr_kernarg_segment_ptr 1
		.amdhsa_user_sgpr_dispatch_id 0
		.amdhsa_user_sgpr_kernarg_preload_length 0
		.amdhsa_user_sgpr_kernarg_preload_offset 0
		.amdhsa_user_sgpr_private_segment_size 0
		.amdhsa_wavefront_size32 1
		.amdhsa_uses_dynamic_stack 0
		.amdhsa_enable_private_segment 0
		.amdhsa_system_sgpr_workgroup_id_x 1
		.amdhsa_system_sgpr_workgroup_id_y 1
		.amdhsa_system_sgpr_workgroup_id_z 0
		.amdhsa_system_sgpr_workgroup_info 0
		.amdhsa_system_vgpr_workitem_id 1
		.amdhsa_next_free_vgpr 60
		.amdhsa_next_free_sgpr 42
		.amdhsa_named_barrier_count 0
		.amdhsa_reserve_vcc 1
		.amdhsa_float_round_mode_32 0
		.amdhsa_float_round_mode_16_64 0
		.amdhsa_float_denorm_mode_32 3
		.amdhsa_float_denorm_mode_16_64 3
		.amdhsa_fp16_overflow 0
		.amdhsa_memory_ordered 1
		.amdhsa_forward_progress 1
		.amdhsa_inst_pref_size 17
		.amdhsa_round_robin_scheduling 0
		.amdhsa_exception_fp_ieee_invalid_op 0
		.amdhsa_exception_fp_denorm_src 0
		.amdhsa_exception_fp_ieee_div_zero 0
		.amdhsa_exception_fp_ieee_overflow 0
		.amdhsa_exception_fp_ieee_underflow 0
		.amdhsa_exception_fp_ieee_inexact 0
		.amdhsa_exception_int_div_zero 0
	.end_amdhsa_kernel
	.text
.Lfunc_end0:
	.size	_Z9hotspot3dPKfS0_Pfiiiffffffff, .Lfunc_end0-_Z9hotspot3dPKfS0_Pfiiiffffffff
                                        ; -- End function
	.set _Z9hotspot3dPKfS0_Pfiiiffffffff.num_vgpr, 60
	.set _Z9hotspot3dPKfS0_Pfiiiffffffff.num_agpr, 0
	.set _Z9hotspot3dPKfS0_Pfiiiffffffff.numbered_sgpr, 42
	.set _Z9hotspot3dPKfS0_Pfiiiffffffff.num_named_barrier, 0
	.set _Z9hotspot3dPKfS0_Pfiiiffffffff.private_seg_size, 0
	.set _Z9hotspot3dPKfS0_Pfiiiffffffff.uses_vcc, 1
	.set _Z9hotspot3dPKfS0_Pfiiiffffffff.uses_flat_scratch, 0
	.set _Z9hotspot3dPKfS0_Pfiiiffffffff.has_dyn_sized_stack, 0
	.set _Z9hotspot3dPKfS0_Pfiiiffffffff.has_recursion, 0
	.set _Z9hotspot3dPKfS0_Pfiiiffffffff.has_indirect_call, 0
	.section	.AMDGPU.csdata,"",@progbits
; Kernel info:
; codeLenInByte = 2144
; TotalNumSgprs: 44
; NumVgprs: 60
; ScratchSize: 0
; MemoryBound: 0
; FloatMode: 240
; IeeeMode: 1
; LDSByteSize: 0 bytes/workgroup (compile time only)
; SGPRBlocks: 0
; VGPRBlocks: 3
; NumSGPRsForWavesPerEU: 44
; NumVGPRsForWavesPerEU: 60
; NamedBarCnt: 0
; Occupancy: 16
; WaveLimiterHint : 0
; COMPUTE_PGM_RSRC2:SCRATCH_EN: 0
; COMPUTE_PGM_RSRC2:USER_SGPR: 2
; COMPUTE_PGM_RSRC2:TRAP_HANDLER: 0
; COMPUTE_PGM_RSRC2:TGID_X_EN: 1
; COMPUTE_PGM_RSRC2:TGID_Y_EN: 1
; COMPUTE_PGM_RSRC2:TGID_Z_EN: 0
; COMPUTE_PGM_RSRC2:TIDIG_COMP_CNT: 1
	.text
	.p2alignl 7, 3214868480
	.fill 96, 4, 3214868480
	.section	.AMDGPU.gpr_maximums,"",@progbits
	.set amdgpu.max_num_vgpr, 0
	.set amdgpu.max_num_agpr, 0
	.set amdgpu.max_num_sgpr, 0
	.text
	.type	__hip_cuid_2fb19e00b98c8b9,@object ; @__hip_cuid_2fb19e00b98c8b9
	.section	.bss,"aw",@nobits
	.globl	__hip_cuid_2fb19e00b98c8b9
__hip_cuid_2fb19e00b98c8b9:
	.byte	0                               ; 0x0
	.size	__hip_cuid_2fb19e00b98c8b9, 1

	.ident	"AMD clang version 22.0.0git (https://github.com/RadeonOpenCompute/llvm-project roc-7.2.4 26084 f58b06dce1f9c15707c5f808fd002e18c2accf7e)"
	.section	".note.GNU-stack","",@progbits
	.addrsig
	.addrsig_sym __hip_cuid_2fb19e00b98c8b9
	.amdgpu_metadata
---
amdhsa.kernels:
  - .args:
      - .actual_access:  read_only
        .address_space:  global
        .offset:         0
        .size:           8
        .value_kind:     global_buffer
      - .actual_access:  read_only
        .address_space:  global
        .offset:         8
        .size:           8
        .value_kind:     global_buffer
      - .actual_access:  write_only
        .address_space:  global
        .offset:         16
        .size:           8
        .value_kind:     global_buffer
      - .offset:         24
        .size:           4
        .value_kind:     by_value
      - .offset:         28
        .size:           4
        .value_kind:     by_value
      - .offset:         32
        .size:           4
        .value_kind:     by_value
      - .offset:         36
        .size:           4
        .value_kind:     by_value
      - .offset:         40
        .size:           4
        .value_kind:     by_value
      - .offset:         44
        .size:           4
        .value_kind:     by_value
      - .offset:         48
        .size:           4
        .value_kind:     by_value
      - .offset:         52
        .size:           4
        .value_kind:     by_value
      - .offset:         56
        .size:           4
        .value_kind:     by_value
      - .offset:         60
        .size:           4
        .value_kind:     by_value
      - .offset:         64
        .size:           4
        .value_kind:     by_value
      - .offset:         72
        .size:           4
        .value_kind:     hidden_block_count_x
      - .offset:         76
        .size:           4
        .value_kind:     hidden_block_count_y
      - .offset:         80
        .size:           4
        .value_kind:     hidden_block_count_z
      - .offset:         84
        .size:           2
        .value_kind:     hidden_group_size_x
      - .offset:         86
        .size:           2
        .value_kind:     hidden_group_size_y
      - .offset:         88
        .size:           2
        .value_kind:     hidden_group_size_z
      - .offset:         90
        .size:           2
        .value_kind:     hidden_remainder_x
      - .offset:         92
        .size:           2
        .value_kind:     hidden_remainder_y
      - .offset:         94
        .size:           2
        .value_kind:     hidden_remainder_z
      - .offset:         112
        .size:           8
        .value_kind:     hidden_global_offset_x
      - .offset:         120
        .size:           8
        .value_kind:     hidden_global_offset_y
      - .offset:         128
        .size:           8
        .value_kind:     hidden_global_offset_z
      - .offset:         136
        .size:           2
        .value_kind:     hidden_grid_dims
    .group_segment_fixed_size: 0
    .kernarg_segment_align: 8
    .kernarg_segment_size: 328
    .language:       OpenCL C
    .language_version:
      - 2
      - 0
    .max_flat_workgroup_size: 1024
    .name:           _Z9hotspot3dPKfS0_Pfiiiffffffff
    .private_segment_fixed_size: 0
    .sgpr_count:     44
    .sgpr_spill_count: 0
    .symbol:         _Z9hotspot3dPKfS0_Pfiiiffffffff.kd
    .uniform_work_group_size: 1
    .uses_dynamic_stack: false
    .vgpr_count:     60
    .vgpr_spill_count: 0
    .wavefront_size: 32
amdhsa.target:   amdgcn-amd-amdhsa--gfx1250
amdhsa.version:
  - 1
  - 2
...

	.end_amdgpu_metadata
